;; amdgpu-corpus repo=ROCm/rocFFT kind=compiled arch=gfx906 opt=O3
	.text
	.amdgcn_target "amdgcn-amd-amdhsa--gfx906"
	.amdhsa_code_object_version 6
	.protected	fft_rtc_back_len1056_factors_2_2_2_2_11_6_wgs_176_tpt_176_halfLds_dp_ip_CI_sbrr_dirReg ; -- Begin function fft_rtc_back_len1056_factors_2_2_2_2_11_6_wgs_176_tpt_176_halfLds_dp_ip_CI_sbrr_dirReg
	.globl	fft_rtc_back_len1056_factors_2_2_2_2_11_6_wgs_176_tpt_176_halfLds_dp_ip_CI_sbrr_dirReg
	.p2align	8
	.type	fft_rtc_back_len1056_factors_2_2_2_2_11_6_wgs_176_tpt_176_halfLds_dp_ip_CI_sbrr_dirReg,@function
fft_rtc_back_len1056_factors_2_2_2_2_11_6_wgs_176_tpt_176_halfLds_dp_ip_CI_sbrr_dirReg: ; @fft_rtc_back_len1056_factors_2_2_2_2_11_6_wgs_176_tpt_176_halfLds_dp_ip_CI_sbrr_dirReg
; %bb.0:
	s_load_dwordx2 s[14:15], s[4:5], 0x18
	s_load_dwordx4 s[8:11], s[4:5], 0x0
	s_load_dwordx2 s[12:13], s[4:5], 0x50
	v_mul_u32_u24_e32 v1, 0x175, v0
	v_add_u32_sdwa v5, s6, v1 dst_sel:DWORD dst_unused:UNUSED_PAD src0_sel:DWORD src1_sel:WORD_1
	s_waitcnt lgkmcnt(0)
	s_load_dwordx2 s[2:3], s[14:15], 0x0
	v_cmp_lt_u64_e64 s[0:1], s[10:11], 2
	v_mov_b32_e32 v3, 0
	v_mov_b32_e32 v1, 0
	;; [unrolled: 1-line block ×3, first 2 shown]
	s_and_b64 vcc, exec, s[0:1]
	v_mov_b32_e32 v2, 0
	s_cbranch_vccnz .LBB0_8
; %bb.1:
	s_load_dwordx2 s[0:1], s[4:5], 0x10
	s_add_u32 s6, s14, 8
	s_addc_u32 s7, s15, 0
	v_mov_b32_e32 v1, 0
	v_mov_b32_e32 v2, 0
	s_waitcnt lgkmcnt(0)
	s_add_u32 s16, s0, 8
	s_addc_u32 s17, s1, 0
	s_mov_b64 s[18:19], 1
.LBB0_2:                                ; =>This Inner Loop Header: Depth=1
	s_load_dwordx2 s[20:21], s[16:17], 0x0
                                        ; implicit-def: $vgpr7_vgpr8
	s_waitcnt lgkmcnt(0)
	v_or_b32_e32 v4, s21, v6
	v_cmp_ne_u64_e32 vcc, 0, v[3:4]
	s_and_saveexec_b64 s[0:1], vcc
	s_xor_b64 s[22:23], exec, s[0:1]
	s_cbranch_execz .LBB0_4
; %bb.3:                                ;   in Loop: Header=BB0_2 Depth=1
	v_cvt_f32_u32_e32 v4, s20
	v_cvt_f32_u32_e32 v7, s21
	s_sub_u32 s0, 0, s20
	s_subb_u32 s1, 0, s21
	v_mac_f32_e32 v4, 0x4f800000, v7
	v_rcp_f32_e32 v4, v4
	v_mul_f32_e32 v4, 0x5f7ffffc, v4
	v_mul_f32_e32 v7, 0x2f800000, v4
	v_trunc_f32_e32 v7, v7
	v_mac_f32_e32 v4, 0xcf800000, v7
	v_cvt_u32_f32_e32 v7, v7
	v_cvt_u32_f32_e32 v4, v4
	v_mul_lo_u32 v8, s0, v7
	v_mul_hi_u32 v9, s0, v4
	v_mul_lo_u32 v11, s1, v4
	v_mul_lo_u32 v10, s0, v4
	v_add_u32_e32 v8, v9, v8
	v_add_u32_e32 v8, v8, v11
	v_mul_hi_u32 v9, v4, v10
	v_mul_lo_u32 v11, v4, v8
	v_mul_hi_u32 v13, v4, v8
	v_mul_hi_u32 v12, v7, v10
	v_mul_lo_u32 v10, v7, v10
	v_mul_hi_u32 v14, v7, v8
	v_add_co_u32_e32 v9, vcc, v9, v11
	v_addc_co_u32_e32 v11, vcc, 0, v13, vcc
	v_mul_lo_u32 v8, v7, v8
	v_add_co_u32_e32 v9, vcc, v9, v10
	v_addc_co_u32_e32 v9, vcc, v11, v12, vcc
	v_addc_co_u32_e32 v10, vcc, 0, v14, vcc
	v_add_co_u32_e32 v8, vcc, v9, v8
	v_addc_co_u32_e32 v9, vcc, 0, v10, vcc
	v_add_co_u32_e32 v4, vcc, v4, v8
	v_addc_co_u32_e32 v7, vcc, v7, v9, vcc
	v_mul_lo_u32 v8, s0, v7
	v_mul_hi_u32 v9, s0, v4
	v_mul_lo_u32 v10, s1, v4
	v_mul_lo_u32 v11, s0, v4
	v_add_u32_e32 v8, v9, v8
	v_add_u32_e32 v8, v8, v10
	v_mul_lo_u32 v12, v4, v8
	v_mul_hi_u32 v13, v4, v11
	v_mul_hi_u32 v14, v4, v8
	;; [unrolled: 1-line block ×3, first 2 shown]
	v_mul_lo_u32 v11, v7, v11
	v_mul_hi_u32 v9, v7, v8
	v_add_co_u32_e32 v12, vcc, v13, v12
	v_addc_co_u32_e32 v13, vcc, 0, v14, vcc
	v_mul_lo_u32 v8, v7, v8
	v_add_co_u32_e32 v11, vcc, v12, v11
	v_addc_co_u32_e32 v10, vcc, v13, v10, vcc
	v_addc_co_u32_e32 v9, vcc, 0, v9, vcc
	v_add_co_u32_e32 v8, vcc, v10, v8
	v_addc_co_u32_e32 v9, vcc, 0, v9, vcc
	v_add_co_u32_e32 v4, vcc, v4, v8
	v_addc_co_u32_e32 v9, vcc, v7, v9, vcc
	v_mad_u64_u32 v[7:8], s[0:1], v5, v9, 0
	v_mul_hi_u32 v10, v5, v4
	v_add_co_u32_e32 v11, vcc, v10, v7
	v_addc_co_u32_e32 v12, vcc, 0, v8, vcc
	v_mad_u64_u32 v[7:8], s[0:1], v6, v4, 0
	v_mad_u64_u32 v[9:10], s[0:1], v6, v9, 0
	v_add_co_u32_e32 v4, vcc, v11, v7
	v_addc_co_u32_e32 v4, vcc, v12, v8, vcc
	v_addc_co_u32_e32 v7, vcc, 0, v10, vcc
	v_add_co_u32_e32 v4, vcc, v4, v9
	v_addc_co_u32_e32 v9, vcc, 0, v7, vcc
	v_mul_lo_u32 v10, s21, v4
	v_mul_lo_u32 v11, s20, v9
	v_mad_u64_u32 v[7:8], s[0:1], s20, v4, 0
	v_add3_u32 v8, v8, v11, v10
	v_sub_u32_e32 v10, v6, v8
	v_mov_b32_e32 v11, s21
	v_sub_co_u32_e32 v7, vcc, v5, v7
	v_subb_co_u32_e64 v10, s[0:1], v10, v11, vcc
	v_subrev_co_u32_e64 v11, s[0:1], s20, v7
	v_subbrev_co_u32_e64 v10, s[0:1], 0, v10, s[0:1]
	v_cmp_le_u32_e64 s[0:1], s21, v10
	v_cndmask_b32_e64 v12, 0, -1, s[0:1]
	v_cmp_le_u32_e64 s[0:1], s20, v11
	v_cndmask_b32_e64 v11, 0, -1, s[0:1]
	v_cmp_eq_u32_e64 s[0:1], s21, v10
	v_cndmask_b32_e64 v10, v12, v11, s[0:1]
	v_add_co_u32_e64 v11, s[0:1], 2, v4
	v_addc_co_u32_e64 v12, s[0:1], 0, v9, s[0:1]
	v_add_co_u32_e64 v13, s[0:1], 1, v4
	v_addc_co_u32_e64 v14, s[0:1], 0, v9, s[0:1]
	v_subb_co_u32_e32 v8, vcc, v6, v8, vcc
	v_cmp_ne_u32_e64 s[0:1], 0, v10
	v_cmp_le_u32_e32 vcc, s21, v8
	v_cndmask_b32_e64 v10, v14, v12, s[0:1]
	v_cndmask_b32_e64 v12, 0, -1, vcc
	v_cmp_le_u32_e32 vcc, s20, v7
	v_cndmask_b32_e64 v7, 0, -1, vcc
	v_cmp_eq_u32_e32 vcc, s21, v8
	v_cndmask_b32_e32 v7, v12, v7, vcc
	v_cmp_ne_u32_e32 vcc, 0, v7
	v_cndmask_b32_e64 v7, v13, v11, s[0:1]
	v_cndmask_b32_e32 v8, v9, v10, vcc
	v_cndmask_b32_e32 v7, v4, v7, vcc
.LBB0_4:                                ;   in Loop: Header=BB0_2 Depth=1
	s_andn2_saveexec_b64 s[0:1], s[22:23]
	s_cbranch_execz .LBB0_6
; %bb.5:                                ;   in Loop: Header=BB0_2 Depth=1
	v_cvt_f32_u32_e32 v4, s20
	s_sub_i32 s22, 0, s20
	v_rcp_iflag_f32_e32 v4, v4
	v_mul_f32_e32 v4, 0x4f7ffffe, v4
	v_cvt_u32_f32_e32 v4, v4
	v_mul_lo_u32 v7, s22, v4
	v_mul_hi_u32 v7, v4, v7
	v_add_u32_e32 v4, v4, v7
	v_mul_hi_u32 v4, v5, v4
	v_mul_lo_u32 v7, v4, s20
	v_add_u32_e32 v8, 1, v4
	v_sub_u32_e32 v7, v5, v7
	v_subrev_u32_e32 v9, s20, v7
	v_cmp_le_u32_e32 vcc, s20, v7
	v_cndmask_b32_e32 v7, v7, v9, vcc
	v_cndmask_b32_e32 v4, v4, v8, vcc
	v_add_u32_e32 v8, 1, v4
	v_cmp_le_u32_e32 vcc, s20, v7
	v_cndmask_b32_e32 v7, v4, v8, vcc
	v_mov_b32_e32 v8, v3
.LBB0_6:                                ;   in Loop: Header=BB0_2 Depth=1
	s_or_b64 exec, exec, s[0:1]
	v_mul_lo_u32 v4, v8, s20
	v_mul_lo_u32 v11, v7, s21
	v_mad_u64_u32 v[9:10], s[0:1], v7, s20, 0
	s_load_dwordx2 s[0:1], s[6:7], 0x0
	s_add_u32 s18, s18, 1
	v_add3_u32 v4, v10, v11, v4
	v_sub_co_u32_e32 v5, vcc, v5, v9
	v_subb_co_u32_e32 v4, vcc, v6, v4, vcc
	s_waitcnt lgkmcnt(0)
	v_mul_lo_u32 v4, s0, v4
	v_mul_lo_u32 v6, s1, v5
	v_mad_u64_u32 v[1:2], s[0:1], s0, v5, v[1:2]
	s_addc_u32 s19, s19, 0
	s_add_u32 s6, s6, 8
	v_add3_u32 v2, v6, v2, v4
	v_mov_b32_e32 v4, s10
	v_mov_b32_e32 v5, s11
	s_addc_u32 s7, s7, 0
	v_cmp_ge_u64_e32 vcc, s[18:19], v[4:5]
	s_add_u32 s16, s16, 8
	s_addc_u32 s17, s17, 0
	s_cbranch_vccnz .LBB0_9
; %bb.7:                                ;   in Loop: Header=BB0_2 Depth=1
	v_mov_b32_e32 v5, v7
	v_mov_b32_e32 v6, v8
	s_branch .LBB0_2
.LBB0_8:
	v_mov_b32_e32 v8, v6
	v_mov_b32_e32 v7, v5
.LBB0_9:
	s_lshl_b64 s[0:1], s[10:11], 3
	s_add_u32 s0, s14, s0
	s_addc_u32 s1, s15, s1
	s_load_dwordx2 s[6:7], s[0:1], 0x0
	s_load_dwordx2 s[10:11], s[4:5], 0x20
                                        ; implicit-def: $vgpr24
                                        ; implicit-def: $vgpr25
	s_waitcnt lgkmcnt(0)
	v_mad_u64_u32 v[1:2], s[0:1], s6, v7, v[1:2]
	s_mov_b32 s0, 0x1745d18
	v_mul_lo_u32 v3, s6, v8
	v_mul_lo_u32 v4, s7, v7
	v_mul_hi_u32 v5, v0, s0
	v_cmp_gt_u64_e32 vcc, s[10:11], v[7:8]
	v_cmp_le_u64_e64 s[0:1], s[10:11], v[7:8]
	v_add3_u32 v2, v4, v2, v3
	v_mul_u32_u24_e32 v3, 0xb0, v5
	v_sub_u32_e32 v59, v0, v3
                                        ; implicit-def: $sgpr6
	s_and_saveexec_b64 s[4:5], s[0:1]
	s_xor_b64 s[0:1], exec, s[4:5]
; %bb.10:
	v_add_u32_e32 v24, 0xb0, v59
	v_add_u32_e32 v25, 0x160, v59
	s_mov_b32 s6, 0
; %bb.11:
	s_or_saveexec_b64 s[4:5], s[0:1]
	v_lshlrev_b64 v[40:41], 4, v[1:2]
	v_mov_b32_e32 v58, s6
                                        ; implicit-def: $vgpr14_vgpr15
                                        ; implicit-def: $vgpr2_vgpr3
                                        ; implicit-def: $vgpr18_vgpr19
                                        ; implicit-def: $vgpr6_vgpr7
                                        ; implicit-def: $vgpr22_vgpr23
                                        ; implicit-def: $vgpr10_vgpr11
	s_xor_b64 exec, exec, s[4:5]
	s_cbranch_execz .LBB0_13
; %bb.12:
	v_mad_u64_u32 v[0:1], s[0:1], s2, v59, 0
	v_add_u32_e32 v5, 0x210, v59
	v_mov_b32_e32 v4, s13
	v_mad_u64_u32 v[1:2], s[0:1], s3, v59, v[1:2]
	v_mad_u64_u32 v[2:3], s[0:1], s2, v5, 0
	v_add_co_u32_e64 v8, s[0:1], s12, v40
	v_addc_co_u32_e64 v9, s[0:1], v4, v41, s[0:1]
	v_mad_u64_u32 v[3:4], s[0:1], s3, v5, v[3:4]
	v_add_u32_e32 v24, 0xb0, v59
	v_mad_u64_u32 v[4:5], s[0:1], s2, v24, 0
	v_lshlrev_b64 v[0:1], 4, v[0:1]
	v_add_u32_e32 v25, 0x160, v59
	v_add_co_u32_e64 v26, s[0:1], v8, v0
	v_addc_co_u32_e64 v27, s[0:1], v9, v1, s[0:1]
	v_lshlrev_b64 v[0:1], 4, v[2:3]
	v_mov_b32_e32 v2, v5
	v_mad_u64_u32 v[2:3], s[0:1], s3, v24, v[2:3]
	v_add_u32_e32 v3, 0x2c0, v59
	v_mad_u64_u32 v[6:7], s[0:1], s2, v3, 0
	v_add_co_u32_e64 v28, s[0:1], v8, v0
	v_mov_b32_e32 v5, v2
	v_mov_b32_e32 v2, v7
	v_addc_co_u32_e64 v29, s[0:1], v9, v1, s[0:1]
	v_mad_u64_u32 v[2:3], s[0:1], s3, v3, v[2:3]
	v_lshlrev_b64 v[0:1], 4, v[4:5]
	v_mad_u64_u32 v[3:4], s[0:1], s2, v25, 0
	v_add_co_u32_e64 v30, s[0:1], v8, v0
	v_mov_b32_e32 v7, v2
	v_mov_b32_e32 v2, v4
	v_addc_co_u32_e64 v31, s[0:1], v9, v1, s[0:1]
	v_lshlrev_b64 v[0:1], 4, v[6:7]
	v_mad_u64_u32 v[4:5], s[0:1], s3, v25, v[2:3]
	v_add_u32_e32 v7, 0x370, v59
	v_mad_u64_u32 v[5:6], s[0:1], s2, v7, 0
	v_add_co_u32_e64 v32, s[0:1], v8, v0
	v_mov_b32_e32 v2, v6
	v_addc_co_u32_e64 v33, s[0:1], v9, v1, s[0:1]
	v_lshlrev_b64 v[0:1], 4, v[3:4]
	v_mad_u64_u32 v[2:3], s[0:1], s3, v7, v[2:3]
	v_add_co_u32_e64 v34, s[0:1], v8, v0
	v_mov_b32_e32 v6, v2
	v_addc_co_u32_e64 v35, s[0:1], v9, v1, s[0:1]
	v_lshlrev_b64 v[0:1], 4, v[5:6]
	v_mov_b32_e32 v58, v59
	v_add_co_u32_e64 v36, s[0:1], v8, v0
	v_addc_co_u32_e64 v37, s[0:1], v9, v1, s[0:1]
	global_load_dwordx4 v[8:11], v[26:27], off
	global_load_dwordx4 v[20:23], v[28:29], off
	global_load_dwordx4 v[4:7], v[30:31], off
	global_load_dwordx4 v[16:19], v[32:33], off
	global_load_dwordx4 v[0:3], v[34:35], off
	global_load_dwordx4 v[12:15], v[36:37], off
.LBB0_13:
	s_or_b64 exec, exec, s[4:5]
	s_waitcnt vmcnt(4)
	v_add_f64 v[20:21], v[8:9], -v[20:21]
	s_waitcnt vmcnt(0)
	v_add_f64 v[28:29], v[0:1], -v[12:13]
	v_add_f64 v[12:13], v[10:11], -v[22:23]
	;; [unrolled: 1-line block ×5, first 2 shown]
	v_lshl_add_u32 v44, v59, 4, 0
	v_lshl_add_u32 v61, v25, 4, 0
	v_fma_f64 v[18:19], v[8:9], 2.0, -v[20:21]
	v_fma_f64 v[26:27], v[0:1], 2.0, -v[28:29]
	;; [unrolled: 1-line block ×6, first 2 shown]
	v_lshlrev_b32_e32 v47, 3, v59
	v_lshlrev_b32_e32 v65, 3, v25
	v_lshl_add_u32 v60, v24, 4, 0
	v_sub_u32_e32 v38, v44, v47
	v_lshlrev_b32_e32 v64, 3, v24
	v_sub_u32_e32 v43, v61, v65
	ds_write_b128 v44, v[18:21]
	ds_write_b128 v60, v[14:17]
	;; [unrolled: 1-line block ×3, first 2 shown]
	s_waitcnt lgkmcnt(0)
	s_barrier
	ds_read_b64 v[14:15], v38
	v_add_u32_e32 v39, 0x1000, v38
	v_sub_u32_e32 v42, v60, v64
	ds_read_b64 v[16:17], v43
	ds_read_b64 v[18:19], v42
	ds_read_b64 v[20:21], v38 offset:7040
	ds_read2_b64 v[0:3], v39 offset0:16 offset1:192
	s_waitcnt lgkmcnt(0)
	s_barrier
	ds_write_b128 v44, v[10:13]
	ds_write_b128 v60, v[30:33]
	;; [unrolled: 1-line block ×3, first 2 shown]
	v_and_b32_e32 v34, 1, v59
	v_lshlrev_b32_e32 v4, 4, v34
	s_waitcnt lgkmcnt(0)
	s_barrier
	global_load_dwordx4 v[4:7], v4, s[8:9]
	s_movk_i32 s0, 0x1fc
	v_lshlrev_b32_e32 v48, 1, v59
	v_lshlrev_b32_e32 v49, 1, v24
	s_movk_i32 s1, 0x3fc
	v_lshlrev_b32_e32 v50, 1, v25
	s_movk_i32 s4, 0x7fc
	ds_read2_b64 v[8:11], v39 offset0:16 offset1:192
	ds_read_b64 v[12:13], v38 offset:7040
	ds_read_b64 v[22:23], v43
	ds_read_b64 v[24:25], v42
	;; [unrolled: 1-line block ×3, first 2 shown]
	v_and_or_b32 v46, v48, s0, v34
	v_and_or_b32 v51, v49, s1, v34
	;; [unrolled: 1-line block ×3, first 2 shown]
	v_and_b32_e32 v45, 3, v59
	v_lshlrev_b32_e32 v53, 4, v45
	s_waitcnt vmcnt(0) lgkmcnt(0)
	s_barrier
	s_movk_i32 s0, 0x1f8
	s_movk_i32 s1, 0x3f8
	;; [unrolled: 1-line block ×4, first 2 shown]
                                        ; implicit-def: $vgpr54_vgpr55
	v_mul_f64 v[28:29], v[8:9], v[6:7]
	v_mul_f64 v[30:31], v[10:11], v[6:7]
	;; [unrolled: 1-line block ×6, first 2 shown]
	v_fma_f64 v[0:1], v[0:1], v[4:5], v[28:29]
	v_fma_f64 v[2:3], v[2:3], v[4:5], v[30:31]
	v_fma_f64 v[8:9], v[8:9], v[4:5], -v[34:35]
	v_fma_f64 v[10:11], v[10:11], v[4:5], -v[36:37]
	v_fma_f64 v[20:21], v[20:21], v[4:5], v[32:33]
	v_fma_f64 v[4:5], v[12:13], v[4:5], -v[6:7]
	v_lshl_add_u32 v28, v46, 3, 0
	v_lshl_add_u32 v29, v51, 3, 0
	v_add_f64 v[0:1], v[14:15], -v[0:1]
	v_add_f64 v[2:3], v[18:19], -v[2:3]
	;; [unrolled: 1-line block ×6, first 2 shown]
	v_lshl_add_u32 v30, v52, 3, 0
	v_and_b32_e32 v51, 7, v59
	v_fma_f64 v[12:13], v[14:15], 2.0, -v[0:1]
	v_fma_f64 v[14:15], v[18:19], 2.0, -v[2:3]
	;; [unrolled: 1-line block ×6, first 2 shown]
	ds_write2_b64 v28, v[12:13], v[0:1] offset1:2
	ds_write2_b64 v29, v[14:15], v[2:3] offset1:2
	;; [unrolled: 1-line block ×3, first 2 shown]
	s_waitcnt lgkmcnt(0)
	s_barrier
	ds_read_b64 v[12:13], v38
	ds_read_b64 v[14:15], v43
	;; [unrolled: 1-line block ×3, first 2 shown]
	ds_read_b64 v[24:25], v38 offset:7040
	ds_read2_b64 v[0:3], v39 offset0:16 offset1:192
	s_waitcnt lgkmcnt(0)
	s_barrier
	ds_write2_b64 v28, v[18:19], v[8:9] offset1:2
	ds_write2_b64 v29, v[20:21], v[10:11] offset1:2
	;; [unrolled: 1-line block ×3, first 2 shown]
	s_waitcnt lgkmcnt(0)
	s_barrier
	global_load_dwordx4 v[4:7], v53, s[8:9] offset:32
	ds_read2_b64 v[8:11], v39 offset0:16 offset1:192
	ds_read_b64 v[18:19], v38 offset:7040
	ds_read_b64 v[20:21], v43
	ds_read_b64 v[22:23], v42
	;; [unrolled: 1-line block ×3, first 2 shown]
	v_and_or_b32 v46, v48, s0, v45
	v_and_or_b32 v52, v49, s1, v45
	;; [unrolled: 1-line block ×3, first 2 shown]
	v_lshlrev_b32_e32 v53, 4, v51
	s_waitcnt vmcnt(0) lgkmcnt(0)
	s_barrier
	s_movk_i32 s0, 0x1f0
	s_movk_i32 s1, 0x3f0
	s_movk_i32 s4, 0x7f0
	v_mul_f64 v[28:29], v[8:9], v[6:7]
	v_mul_f64 v[34:35], v[0:1], v[6:7]
	;; [unrolled: 1-line block ×6, first 2 shown]
	v_fma_f64 v[0:1], v[0:1], v[4:5], v[28:29]
	v_fma_f64 v[8:9], v[8:9], v[4:5], -v[34:35]
	v_fma_f64 v[2:3], v[2:3], v[4:5], v[30:31]
	v_fma_f64 v[10:11], v[10:11], v[4:5], -v[36:37]
	;; [unrolled: 2-line block ×3, first 2 shown]
	v_lshl_add_u32 v28, v46, 3, 0
	v_lshl_add_u32 v29, v52, 3, 0
	v_add_f64 v[0:1], v[12:13], -v[0:1]
	v_add_f64 v[8:9], v[26:27], -v[8:9]
	;; [unrolled: 1-line block ×6, first 2 shown]
	v_lshl_add_u32 v24, v45, 3, 0
	v_fma_f64 v[12:13], v[12:13], 2.0, -v[0:1]
	v_fma_f64 v[18:19], v[26:27], 2.0, -v[8:9]
	;; [unrolled: 1-line block ×6, first 2 shown]
	ds_write2_b64 v28, v[12:13], v[0:1] offset1:4
	ds_write2_b64 v29, v[16:17], v[2:3] offset1:4
	;; [unrolled: 1-line block ×3, first 2 shown]
	s_waitcnt lgkmcnt(0)
	s_barrier
	ds_read_b64 v[12:13], v38
	ds_read_b64 v[16:17], v43
	;; [unrolled: 1-line block ×3, first 2 shown]
	ds_read_b64 v[32:33], v38 offset:7040
	ds_read2_b64 v[0:3], v39 offset0:16 offset1:192
	s_waitcnt lgkmcnt(0)
	s_barrier
	ds_write2_b64 v28, v[18:19], v[8:9] offset1:4
	ds_write2_b64 v29, v[22:23], v[10:11] offset1:4
	;; [unrolled: 1-line block ×3, first 2 shown]
	s_waitcnt lgkmcnt(0)
	s_barrier
	global_load_dwordx4 v[24:27], v53, s[8:9] offset:96
	ds_read2_b64 v[28:31], v39 offset0:16 offset1:192
	ds_read_b64 v[34:35], v38 offset:7040
	ds_read_b64 v[36:37], v42
	ds_read_b64 v[38:39], v38
	;; [unrolled: 1-line block ×3, first 2 shown]
	v_and_or_b32 v18, v48, s0, v51
	v_and_or_b32 v19, v49, s1, v51
	;; [unrolled: 1-line block ×3, first 2 shown]
	v_cmp_gt_u32_e64 s[0:1], s5, v59
	s_waitcnt vmcnt(0) lgkmcnt(0)
	s_barrier
	s_waitcnt lgkmcnt(0)
                                        ; implicit-def: $vgpr22_vgpr23
	v_mul_f64 v[4:5], v[28:29], v[26:27]
	v_mul_f64 v[6:7], v[30:31], v[26:27]
	;; [unrolled: 1-line block ×3, first 2 shown]
	v_fma_f64 v[4:5], v[0:1], v[24:25], v[4:5]
	v_fma_f64 v[10:11], v[2:3], v[24:25], v[6:7]
	v_fma_f64 v[8:9], v[32:33], v[24:25], v[8:9]
	v_add_f64 v[6:7], v[12:13], -v[4:5]
	v_add_f64 v[10:11], v[45:46], -v[10:11]
	v_add_f64 v[14:15], v[16:17], -v[8:9]
	v_sub_u32_e32 v4, 0, v47
	v_add_u32_e32 v62, v44, v4
	v_lshl_add_u32 v44, v18, 3, 0
	v_fma_f64 v[4:5], v[12:13], 2.0, -v[6:7]
	v_fma_f64 v[8:9], v[45:46], 2.0, -v[10:11]
	;; [unrolled: 1-line block ×3, first 2 shown]
	v_lshl_add_u32 v45, v19, 3, 0
	v_lshl_add_u32 v46, v20, 3, 0
	ds_write2_b64 v44, v[4:5], v[6:7] offset1:8
	ds_write2_b64 v45, v[8:9], v[10:11] offset1:8
	;; [unrolled: 1-line block ×3, first 2 shown]
	s_waitcnt lgkmcnt(0)
	s_barrier
	s_waitcnt lgkmcnt(0)
                                        ; implicit-def: $vgpr18_vgpr19
	s_and_saveexec_b64 s[4:5], s[0:1]
	s_cbranch_execz .LBB0_15
; %bb.14:
	v_add_u32_e32 v16, 0x1000, v62
	v_add_u32_e32 v8, 0x400, v62
	;; [unrolled: 1-line block ×3, first 2 shown]
	ds_read2_b64 v[20:23], v16 offset0:64 offset1:160
	v_add_u32_e32 v16, 0x1800, v62
	ds_read2_b64 v[4:7], v62 offset1:96
	ds_read2_b64 v[8:11], v8 offset0:64 offset1:160
	ds_read2_b64 v[12:15], v12 offset0:128 offset1:224
	ds_read2_b64 v[16:19], v16 offset1:96
	ds_read_b64 v[54:55], v62 offset:7680
.LBB0_15:
	s_or_b64 exec, exec, s[4:5]
	v_mul_f64 v[0:1], v[0:1], v[26:27]
	v_mul_f64 v[2:3], v[2:3], v[26:27]
	;; [unrolled: 1-line block ×3, first 2 shown]
	s_waitcnt lgkmcnt(0)
	s_barrier
	s_waitcnt lgkmcnt(0)
                                        ; implicit-def: $vgpr56_vgpr57
	v_fma_f64 v[0:1], v[28:29], v[24:25], -v[0:1]
	v_fma_f64 v[28:29], v[30:31], v[24:25], -v[2:3]
	;; [unrolled: 1-line block ×3, first 2 shown]
	v_add_f64 v[2:3], v[38:39], -v[0:1]
	v_add_f64 v[26:27], v[36:37], -v[28:29]
	v_add_f64 v[32:33], v[42:43], -v[24:25]
	v_fma_f64 v[0:1], v[38:39], 2.0, -v[2:3]
	v_fma_f64 v[24:25], v[36:37], 2.0, -v[26:27]
	v_fma_f64 v[28:29], v[42:43], 2.0, -v[32:33]
                                        ; implicit-def: $vgpr38_vgpr39
	ds_write2_b64 v44, v[0:1], v[2:3] offset1:8
	ds_write2_b64 v45, v[24:25], v[26:27] offset1:8
	;; [unrolled: 1-line block ×3, first 2 shown]
	s_waitcnt lgkmcnt(0)
	s_barrier
	s_and_saveexec_b64 s[4:5], s[0:1]
	s_cbranch_execz .LBB0_17
; %bb.16:
	v_add_u32_e32 v24, 0x400, v62
	v_lshl_add_u32 v28, v59, 3, 0
	v_add_u32_e32 v32, 0xc00, v62
	v_add_u32_e32 v36, 0x100, v62
	ds_read2_b64 v[0:3], v62 offset1:96
	ds_read2_b64 v[24:27], v24 offset0:64 offset1:160
	ds_read2st64_b64 v[28:31], v28 offset0:6 offset1:12
	ds_read2_b64 v[32:35], v32 offset0:96 offset1:192
	ds_read2st64_b64 v[36:39], v36 offset0:10 offset1:13
	ds_read_b64 v[56:57], v62 offset:7680
.LBB0_17:
	s_or_b64 exec, exec, s[4:5]
	v_and_b32_e32 v63, 15, v59
	v_mul_u32_u24_e32 v42, 10, v63
	v_lshlrev_b32_e32 v46, 4, v42
	global_load_dwordx4 v[42:45], v46, s[8:9] offset:240
	global_load_dwordx4 v[50:53], v46, s[8:9] offset:256
	;; [unrolled: 1-line block ×10, first 2 shown]
	s_waitcnt vmcnt(0) lgkmcnt(0)
	s_barrier
	v_mul_f64 v[46:47], v[24:25], v[44:45]
	v_mul_f64 v[44:45], v[8:9], v[44:45]
	;; [unrolled: 1-line block ×20, first 2 shown]
	v_fma_f64 v[46:47], v[8:9], v[42:43], v[46:47]
	v_fma_f64 v[48:49], v[24:25], v[42:43], -v[44:45]
	v_fma_f64 v[42:43], v[10:11], v[50:51], v[98:99]
	v_fma_f64 v[44:45], v[26:27], v[50:51], -v[52:53]
	;; [unrolled: 2-line block ×4, first 2 shown]
	v_fma_f64 v[14:15], v[34:35], v[74:75], -v[104:105]
	v_fma_f64 v[10:11], v[20:21], v[74:75], v[76:77]
	v_fma_f64 v[20:21], v[22:23], v[78:79], v[106:107]
	v_fma_f64 v[22:23], v[36:37], v[78:79], -v[80:81]
	v_fma_f64 v[28:29], v[30:31], v[82:83], -v[108:109]
	v_fma_f64 v[16:17], v[16:17], v[82:83], v[84:85]
	v_fma_f64 v[50:51], v[18:19], v[86:87], v[110:111]
	v_fma_f64 v[30:31], v[38:39], v[86:87], -v[88:89]
	v_fma_f64 v[38:39], v[6:7], v[90:91], v[112:113]
	v_fma_f64 v[52:53], v[2:3], v[90:91], -v[92:93]
	v_fma_f64 v[54:55], v[54:55], v[94:95], v[114:115]
	v_fma_f64 v[18:19], v[56:57], v[94:95], -v[96:97]
	v_sub_u32_e32 v3, 0, v64
	v_sub_u32_e32 v2, 0, v65
	v_lshrrev_b32_e32 v56, 4, v59
	s_and_saveexec_b64 s[4:5], s[0:1]
	s_cbranch_execz .LBB0_19
; %bb.18:
	v_add_f64 v[6:7], v[52:53], -v[18:19]
	s_mov_b32 s10, 0xfd768dbf
	s_mov_b32 s11, 0xbfd207e7
	v_add_f64 v[36:37], v[48:49], -v[30:31]
	v_add_f64 v[64:65], v[38:39], v[54:55]
	s_mov_b32 s14, 0xf8bb580b
	s_mov_b32 s6, 0x9bcd5057
	;; [unrolled: 1-line block ×3, first 2 shown]
	v_mul_f64 v[66:67], v[6:7], s[10:11]
	s_mov_b32 s7, 0xbfeeb42a
	v_add_f64 v[68:69], v[44:45], -v[28:29]
	v_add_f64 v[70:71], v[46:47], v[50:51]
	v_mul_f64 v[72:73], v[36:37], s[14:15]
	s_mov_b32 s18, 0xbb3a28a1
	s_mov_b32 s16, 0x8764f0ba
	;; [unrolled: 1-line block ×3, first 2 shown]
	v_fma_f64 v[74:75], v[64:65], s[6:7], -v[66:67]
	s_mov_b32 s17, 0x3feaeb8c
	v_add_f64 v[34:35], v[42:43], v[16:17]
	v_fma_f64 v[66:67], v[64:65], s[6:7], v[66:67]
	v_add_f64 v[76:77], v[26:27], -v[22:23]
	v_mul_f64 v[78:79], v[68:69], s[18:19]
	v_fma_f64 v[80:81], v[70:71], s[16:17], -v[72:73]
	s_mov_b32 s20, 0x7f775887
	v_add_f64 v[74:75], v[4:5], v[74:75]
	s_mov_b32 s25, 0x3fed1bb4
	s_mov_b32 s24, 0x8eee2c13
	;; [unrolled: 1-line block ×3, first 2 shown]
	v_add_f64 v[32:33], v[24:25], v[20:21]
	v_fma_f64 v[72:73], v[70:71], s[16:17], v[72:73]
	v_add_f64 v[66:67], v[4:5], v[66:67]
	v_mul_f64 v[82:83], v[76:77], s[24:25]
	v_fma_f64 v[84:85], v[34:35], s[20:21], -v[78:79]
	v_add_f64 v[74:75], v[80:81], v[74:75]
	v_mul_f64 v[80:81], v[6:7], s[18:19]
	s_mov_b32 s22, 0xd9c712b6
	s_mov_b32 s28, 0x43842ef
	;; [unrolled: 1-line block ×6, first 2 shown]
	v_fma_f64 v[78:79], v[34:35], s[20:21], v[78:79]
	v_fma_f64 v[86:87], v[32:33], s[22:23], -v[82:83]
	v_add_f64 v[66:67], v[72:73], v[66:67]
	v_add_f64 v[72:73], v[84:85], v[74:75]
	v_add_f64 v[74:75], v[12:13], -v[14:15]
	v_fma_f64 v[84:85], v[64:65], s[20:21], -v[80:81]
	v_mul_f64 v[88:89], v[36:37], s[30:31]
	v_fma_f64 v[80:81], v[64:65], s[20:21], v[80:81]
	s_mov_b32 s26, 0x640f44db
	s_mov_b32 s27, 0xbfc2375f
	;; [unrolled: 1-line block ×4, first 2 shown]
	v_fma_f64 v[82:83], v[32:33], s[22:23], v[82:83]
	v_add_f64 v[66:67], v[78:79], v[66:67]
	v_add_f64 v[78:79], v[8:9], v[10:11]
	v_mul_f64 v[90:91], v[74:75], s[28:29]
	v_add_f64 v[84:85], v[4:5], v[84:85]
	v_fma_f64 v[92:93], v[70:71], s[26:27], -v[88:89]
	v_mul_f64 v[94:95], v[68:69], s[34:35]
	v_add_f64 v[72:73], v[86:87], v[72:73]
	v_mul_f64 v[86:87], v[6:7], s[28:29]
	v_fma_f64 v[88:89], v[70:71], s[26:27], v[88:89]
	v_add_f64 v[80:81], v[4:5], v[80:81]
	s_mov_b32 s37, 0x3fd207e7
	s_mov_b32 s36, s10
	v_add_f64 v[66:67], v[82:83], v[66:67]
	v_fma_f64 v[82:83], v[78:79], s[26:27], -v[90:91]
	v_add_f64 v[84:85], v[92:93], v[84:85]
	v_fma_f64 v[92:93], v[34:35], s[16:17], -v[94:95]
	v_mul_f64 v[96:97], v[76:77], s[10:11]
	v_fma_f64 v[98:99], v[64:65], s[26:27], -v[86:87]
	v_mul_f64 v[100:101], v[36:37], s[36:37]
	v_add_f64 v[80:81], v[88:89], v[80:81]
	v_fma_f64 v[88:89], v[34:35], s[16:17], v[94:95]
	v_fma_f64 v[86:87], v[64:65], s[26:27], v[86:87]
	;; [unrolled: 1-line block ×3, first 2 shown]
	v_add_f64 v[84:85], v[92:93], v[84:85]
	v_fma_f64 v[92:93], v[32:33], s[6:7], -v[96:97]
	v_add_f64 v[72:73], v[82:83], v[72:73]
	v_mul_f64 v[82:83], v[74:75], s[24:25]
	v_add_f64 v[98:99], v[4:5], v[98:99]
	v_fma_f64 v[102:103], v[70:71], s[6:7], -v[100:101]
	v_mul_f64 v[104:105], v[68:69], s[24:25]
	v_add_f64 v[80:81], v[88:89], v[80:81]
	v_fma_f64 v[88:89], v[70:71], s[6:7], v[100:101]
	v_add_f64 v[86:87], v[4:5], v[86:87]
	v_add_f64 v[100:101], v[4:5], v[38:39]
	s_mov_b32 s25, 0xbfed1bb4
	v_add_f64 v[66:67], v[90:91], v[66:67]
	v_add_f64 v[84:85], v[92:93], v[84:85]
	v_fma_f64 v[90:91], v[78:79], s[22:23], -v[82:83]
	v_add_f64 v[92:93], v[102:103], v[98:99]
	v_fma_f64 v[94:95], v[34:35], s[22:23], -v[104:105]
	v_mul_f64 v[98:99], v[76:77], s[34:35]
	v_mul_f64 v[102:103], v[6:7], s[24:25]
	v_add_f64 v[86:87], v[88:89], v[86:87]
	v_add_f64 v[88:89], v[100:101], v[46:47]
	v_fma_f64 v[96:97], v[32:33], s[6:7], v[96:97]
	v_add_f64 v[84:85], v[90:91], v[84:85]
	v_mul_f64 v[90:91], v[36:37], s[18:19]
	v_add_f64 v[92:93], v[94:95], v[92:93]
	v_fma_f64 v[94:95], v[32:33], s[16:17], -v[98:99]
	v_fma_f64 v[106:107], v[64:65], s[22:23], -v[102:103]
	v_mul_f64 v[6:7], v[6:7], s[34:35]
	v_add_f64 v[88:89], v[88:89], v[42:43]
	v_add_f64 v[80:81], v[96:97], v[80:81]
	v_fma_f64 v[96:97], v[64:65], s[22:23], v[102:103]
	v_fma_f64 v[102:103], v[70:71], s[20:21], -v[90:91]
	v_fma_f64 v[100:101], v[34:35], s[22:23], v[104:105]
	v_add_f64 v[92:93], v[94:95], v[92:93]
	v_add_f64 v[94:95], v[4:5], v[106:107]
	v_mul_f64 v[104:105], v[68:69], s[36:37]
	v_add_f64 v[88:89], v[88:89], v[24:25]
	v_fma_f64 v[90:91], v[70:71], s[20:21], v[90:91]
	v_add_f64 v[96:97], v[4:5], v[96:97]
	v_mul_f64 v[36:37], v[36:37], s[24:25]
	v_mul_f64 v[68:69], v[68:69], s[28:29]
	v_add_f64 v[86:87], v[100:101], v[86:87]
	v_add_f64 v[94:95], v[102:103], v[94:95]
	v_fma_f64 v[102:103], v[64:65], s[16:17], v[6:7]
	v_fma_f64 v[6:7], v[64:65], s[16:17], -v[6:7]
	v_add_f64 v[88:89], v[88:89], v[8:9]
	v_add_f64 v[64:65], v[90:91], v[96:97]
	v_fma_f64 v[90:91], v[34:35], s[6:7], v[104:105]
	v_fma_f64 v[96:97], v[70:71], s[22:23], v[36:37]
	v_fma_f64 v[98:99], v[32:33], s[16:17], v[98:99]
	v_mul_f64 v[106:107], v[76:77], s[30:31]
	v_add_f64 v[102:103], v[4:5], v[102:103]
	v_add_f64 v[4:5], v[4:5], v[6:7]
	v_fma_f64 v[6:7], v[70:71], s[22:23], -v[36:37]
	v_add_f64 v[70:71], v[88:89], v[10:11]
	v_add_f64 v[64:65], v[90:91], v[64:65]
	v_fma_f64 v[88:89], v[34:35], s[26:27], v[68:69]
	v_mul_f64 v[76:77], v[76:77], s[18:19]
	v_fma_f64 v[100:101], v[34:35], s[6:7], -v[104:105]
	v_add_f64 v[90:91], v[96:97], v[102:103]
	v_fma_f64 v[96:97], v[32:33], s[26:27], v[106:107]
	v_add_f64 v[4:5], v[6:7], v[4:5]
	v_fma_f64 v[6:7], v[34:35], s[26:27], -v[68:69]
	v_add_f64 v[68:69], v[70:71], v[20:21]
	v_add_f64 v[34:35], v[98:99], v[86:87]
	v_fma_f64 v[86:87], v[32:33], s[20:21], v[76:77]
	v_add_f64 v[94:95], v[100:101], v[94:95]
	v_add_f64 v[70:71], v[88:89], v[90:91]
	v_mul_f64 v[88:89], v[74:75], s[18:19]
	v_fma_f64 v[36:37], v[32:33], s[26:27], -v[106:107]
	v_add_f64 v[4:5], v[6:7], v[4:5]
	v_mul_f64 v[6:7], v[74:75], s[10:11]
	v_add_f64 v[68:69], v[68:69], v[16:17]
	v_mul_f64 v[74:75], v[74:75], s[14:15]
	v_fma_f64 v[32:33], v[32:33], s[20:21], -v[76:77]
	v_add_f64 v[70:71], v[86:87], v[70:71]
	v_fma_f64 v[76:77], v[78:79], s[22:23], v[82:83]
	v_fma_f64 v[82:83], v[78:79], s[20:21], -v[88:89]
	v_fma_f64 v[86:87], v[78:79], s[20:21], v[88:89]
	v_fma_f64 v[88:89], v[78:79], s[6:7], v[6:7]
	v_add_f64 v[68:69], v[68:69], v[50:51]
	v_add_f64 v[64:65], v[96:97], v[64:65]
	v_fma_f64 v[90:91], v[78:79], s[16:17], v[74:75]
	v_add_f64 v[36:37], v[36:37], v[94:95]
	v_fma_f64 v[74:75], v[78:79], s[16:17], -v[74:75]
	v_fma_f64 v[6:7], v[78:79], s[6:7], -v[6:7]
	v_add_f64 v[4:5], v[32:33], v[4:5]
	v_add_f64 v[70:71], v[88:89], v[70:71]
	;; [unrolled: 1-line block ×9, first 2 shown]
	v_mul_u32_u24_e32 v6, 0xb0, v56
	v_or_b32_e32 v6, v6, v63
	v_lshl_add_u32 v6, v6, 3, 0
	ds_write2_b64 v6, v[68:69], v[70:71] offset1:16
	ds_write2_b64 v6, v[64:65], v[34:35] offset0:32 offset1:48
	ds_write2_b64 v6, v[32:33], v[66:67] offset0:64 offset1:80
	;; [unrolled: 1-line block ×4, first 2 shown]
	ds_write_b64 v6, v[4:5] offset:1280
.LBB0_19:
	s_or_b64 exec, exec, s[4:5]
	v_add_u32_e32 v57, v60, v3
	s_waitcnt lgkmcnt(0)
	s_barrier
	ds_read_b64 v[34:35], v57
	v_add_u32_e32 v60, v61, v2
	ds_read_b64 v[32:33], v62 offset:7040
	ds_read_b64 v[6:7], v62
	ds_read_b64 v[36:37], v60
	v_add_u32_e32 v2, 0x1000, v62
	ds_read2_b64 v[2:5], v2 offset0:16 offset1:192
	s_waitcnt lgkmcnt(0)
	s_barrier
	s_and_saveexec_b64 s[4:5], s[0:1]
	s_cbranch_execz .LBB0_21
; %bb.20:
	v_add_f64 v[64:65], v[0:1], v[52:53]
	v_add_f64 v[38:39], v[38:39], -v[54:55]
	v_add_f64 v[52:53], v[52:53], v[18:19]
	s_mov_b32 s10, 0x8764f0ba
	s_mov_b32 s16, 0xd9c712b6
	;; [unrolled: 1-line block ×4, first 2 shown]
	v_add_f64 v[46:47], v[46:47], -v[50:51]
	v_add_f64 v[54:55], v[64:65], v[48:49]
	v_add_f64 v[48:49], v[48:49], v[30:31]
	v_mul_f64 v[50:51], v[52:53], s[10:11]
	v_mul_f64 v[64:65], v[52:53], s[16:17]
	s_mov_b32 s0, 0xf8bb580b
	s_mov_b32 s14, 0x8eee2c13
	;; [unrolled: 1-line block ×4, first 2 shown]
	v_add_f64 v[54:55], v[54:55], v[44:45]
	s_mov_b32 s36, 0x9bcd5057
	s_mov_b32 s1, 0x3fe14ced
	;; [unrolled: 1-line block ×6, first 2 shown]
	v_mul_f64 v[66:67], v[52:53], s[22:23]
	v_add_f64 v[54:55], v[54:55], v[26:27]
	v_mul_f64 v[68:69], v[52:53], s[30:31]
	v_mul_f64 v[52:53], v[52:53], s[36:37]
	;; [unrolled: 1-line block ×4, first 2 shown]
	v_fma_f64 v[76:77], v[38:39], s[0:1], v[50:51]
	v_fma_f64 v[78:79], v[38:39], s[14:15], v[64:65]
	s_mov_b32 s20, 0x43842ef
	v_add_f64 v[54:55], v[54:55], v[12:13]
	s_mov_b32 s26, 0xbb3a28a1
	s_mov_b32 s34, 0xfd768dbf
	;; [unrolled: 1-line block ×7, first 2 shown]
	v_add_f64 v[54:55], v[54:55], v[14:15]
	s_mov_b32 s29, 0xbfe82f19
	s_mov_b32 s35, 0x3fd207e7
	;; [unrolled: 1-line block ×7, first 2 shown]
	v_add_f64 v[54:55], v[54:55], v[22:23]
	s_mov_b32 s38, s34
	v_mul_f64 v[74:75], v[48:49], s[36:37]
	v_fma_f64 v[50:51], v[38:39], s[6:7], v[50:51]
	v_fma_f64 v[64:65], v[38:39], s[18:19], v[64:65]
	v_fma_f64 v[80:81], v[38:39], s[20:21], v[66:67]
	v_fma_f64 v[66:67], v[38:39], s[24:25], v[66:67]
	v_fma_f64 v[82:83], v[38:39], s[26:27], v[68:69]
	v_add_f64 v[54:55], v[54:55], v[28:29]
	v_fma_f64 v[68:69], v[38:39], s[28:29], v[68:69]
	v_fma_f64 v[84:85], v[38:39], s[34:35], v[52:53]
	;; [unrolled: 1-line block ×4, first 2 shown]
	v_add_f64 v[76:77], v[0:1], v[76:77]
	v_fma_f64 v[70:71], v[46:47], s[18:19], v[70:71]
	v_add_f64 v[50:51], v[0:1], v[50:51]
	v_add_f64 v[30:31], v[54:55], v[30:31]
	;; [unrolled: 1-line block ×10, first 2 shown]
	v_fma_f64 v[30:31], v[46:47], s[26:27], v[72:73]
	v_add_f64 v[0:1], v[0:1], v[38:39]
	v_add_f64 v[38:39], v[52:53], v[76:77]
	v_fma_f64 v[52:53], v[46:47], s[28:29], v[72:73]
	v_mul_f64 v[72:73], v[48:49], s[22:23]
	v_add_f64 v[28:29], v[44:45], v[28:29]
	v_mul_f64 v[48:49], v[48:49], s[10:11]
	v_add_f64 v[50:51], v[70:71], v[50:51]
	v_add_f64 v[30:31], v[30:31], v[54:55]
	v_fma_f64 v[54:55], v[46:47], s[34:35], v[74:75]
	v_add_f64 v[16:17], v[42:43], -v[16:17]
	v_add_f64 v[52:53], v[52:53], v[64:65]
	v_fma_f64 v[64:65], v[46:47], s[24:25], v[72:73]
	v_mul_f64 v[42:43], v[28:29], s[22:23]
	v_fma_f64 v[70:71], v[46:47], s[20:21], v[72:73]
	v_fma_f64 v[72:73], v[46:47], s[6:7], v[48:49]
	v_add_f64 v[22:23], v[26:27], v[22:23]
	v_add_f64 v[54:55], v[54:55], v[66:67]
	v_mul_f64 v[66:67], v[28:29], s[36:37]
	v_fma_f64 v[44:45], v[46:47], s[38:39], v[74:75]
	v_fma_f64 v[46:47], v[46:47], s[0:1], v[48:49]
	;; [unrolled: 1-line block ×4, first 2 shown]
	v_add_f64 v[68:69], v[70:71], v[68:69]
	v_add_f64 v[70:71], v[72:73], v[82:83]
	v_mul_f64 v[72:73], v[28:29], s[16:17]
	v_fma_f64 v[74:75], v[16:17], s[38:39], v[66:67]
	v_fma_f64 v[66:67], v[16:17], s[34:35], v[66:67]
	v_mul_f64 v[26:27], v[28:29], s[10:11]
	v_mul_f64 v[28:29], v[28:29], s[30:31]
	v_add_f64 v[20:21], v[24:25], -v[20:21]
	v_mul_f64 v[24:25], v[22:23], s[30:31]
	v_add_f64 v[44:45], v[44:45], v[78:79]
	v_add_f64 v[64:65], v[64:65], v[80:81]
	;; [unrolled: 1-line block ×5, first 2 shown]
	v_fma_f64 v[46:47], v[16:17], s[18:19], v[72:73]
	v_add_f64 v[48:49], v[66:67], v[52:53]
	v_fma_f64 v[50:51], v[16:17], s[14:15], v[72:73]
	v_fma_f64 v[52:53], v[16:17], s[0:1], v[26:27]
	;; [unrolled: 1-line block ×6, first 2 shown]
	v_add_f64 v[44:45], v[46:47], v[44:45]
	v_mul_f64 v[46:47], v[22:23], s[22:23]
	v_add_f64 v[12:13], v[12:13], v[14:15]
	v_add_f64 v[52:53], v[52:53], v[64:65]
	v_fma_f64 v[24:25], v[20:21], s[28:29], v[24:25]
	v_add_f64 v[64:65], v[66:67], v[70:71]
	v_mul_f64 v[66:67], v[22:23], s[10:11]
	v_add_f64 v[0:1], v[16:17], v[0:1]
	v_add_f64 v[16:17], v[28:29], v[38:39]
	v_mul_f64 v[28:29], v[22:23], s[36:37]
	v_add_f64 v[50:51], v[50:51], v[54:55]
	v_fma_f64 v[54:55], v[20:21], s[24:25], v[46:47]
	v_add_f64 v[26:27], v[26:27], v[68:69]
	v_fma_f64 v[14:15], v[20:21], s[20:21], v[46:47]
	v_fma_f64 v[38:39], v[20:21], s[0:1], v[66:67]
	v_mul_f64 v[22:23], v[22:23], s[16:17]
	v_add_f64 v[8:9], v[8:9], -v[10:11]
	v_fma_f64 v[46:47], v[20:21], s[34:35], v[28:29]
	v_fma_f64 v[28:29], v[20:21], s[38:39], v[28:29]
	v_mul_f64 v[10:11], v[12:13], s[36:37]
	v_add_f64 v[24:25], v[24:25], v[42:43]
	v_fma_f64 v[42:43], v[20:21], s[6:7], v[66:67]
	v_add_f64 v[30:31], v[74:75], v[30:31]
	v_add_f64 v[14:15], v[14:15], v[48:49]
	;; [unrolled: 1-line block ×3, first 2 shown]
	v_fma_f64 v[44:45], v[20:21], s[18:19], v[22:23]
	v_fma_f64 v[20:21], v[20:21], s[14:15], v[22:23]
	v_add_f64 v[22:23], v[28:29], v[26:27]
	v_fma_f64 v[26:27], v[8:9], s[34:35], v[10:11]
	v_fma_f64 v[10:11], v[8:9], s[38:39], v[10:11]
	v_mul_f64 v[28:29], v[12:13], s[10:11]
	v_mul_f64 v[48:49], v[12:13], s[30:31]
	v_add_f64 v[42:43], v[42:43], v[50:51]
	v_mul_f64 v[50:51], v[12:13], s[16:17]
	v_mul_f64 v[12:13], v[12:13], s[22:23]
	v_add_f64 v[30:31], v[54:55], v[30:31]
	v_add_f64 v[0:1], v[20:21], v[0:1]
	;; [unrolled: 1-line block ×4, first 2 shown]
	v_fma_f64 v[20:21], v[8:9], s[6:7], v[28:29]
	v_fma_f64 v[24:25], v[8:9], s[0:1], v[28:29]
	;; [unrolled: 1-line block ×3, first 2 shown]
	v_add_f64 v[46:47], v[46:47], v[52:53]
	v_add_f64 v[44:45], v[44:45], v[64:65]
	v_fma_f64 v[28:29], v[8:9], s[18:19], v[50:51]
	v_fma_f64 v[52:53], v[8:9], s[20:21], v[12:13]
	;; [unrolled: 1-line block ×5, first 2 shown]
	v_add_f64 v[20:21], v[20:21], v[30:31]
	v_add_f64 v[14:15], v[24:25], v[14:15]
	;; [unrolled: 1-line block ×8, first 2 shown]
	v_mul_u32_u24_e32 v12, 0xb0, v56
	v_or_b32_e32 v12, v12, v63
	v_lshl_add_u32 v12, v12, 3, 0
	ds_write2_b64 v12, v[18:19], v[16:17] offset1:16
	ds_write2_b64 v12, v[20:21], v[24:25] offset0:32 offset1:48
	ds_write2_b64 v12, v[26:27], v[28:29] offset0:64 offset1:80
	ds_write2_b64 v12, v[0:1], v[22:23] offset0:96 offset1:112
	ds_write2_b64 v12, v[8:9], v[14:15] offset0:128 offset1:144
	ds_write_b64 v12, v[10:11] offset:1280
.LBB0_21:
	s_or_b64 exec, exec, s[4:5]
	s_waitcnt lgkmcnt(0)
	s_barrier
	s_and_saveexec_b64 s[0:1], vcc
	s_cbranch_execz .LBB0_23
; %bb.22:
	v_mul_u32_u24_e32 v0, 5, v59
	v_lshlrev_b32_e32 v0, 4, v0
	global_load_dwordx4 v[8:11], v0, s[8:9] offset:2800
	global_load_dwordx4 v[12:15], v0, s[8:9] offset:2832
	;; [unrolled: 1-line block ×5, first 2 shown]
	ds_read_b64 v[0:1], v62
	ds_read_b64 v[38:39], v62 offset:7040
	ds_read_b64 v[42:43], v60
	ds_read_b64 v[44:45], v57
	v_mov_b32_e32 v48, s13
	v_add_u32_e32 v57, 0x160, v58
	v_add_co_u32_e32 v66, vcc, s12, v40
	v_mad_u64_u32 v[46:47], s[6:7], s2, v58, 0
	v_add_u32_e32 v56, 0xb0, v58
	v_addc_co_u32_e32 v67, vcc, v48, v41, vcc
	v_mad_u64_u32 v[48:49], s[6:7], s2, v57, 0
	v_mad_u64_u32 v[40:41], s[6:7], s2, v56, 0
	v_add_u32_e32 v59, 0x210, v58
	v_add_u32_e32 v60, 0x2c0, v58
	v_mad_u64_u32 v[50:51], s[6:7], s2, v59, 0
	v_add_u32_e32 v28, 0x1000, v62
	v_mad_u64_u32 v[52:53], s[6:7], s2, v60, 0
	v_mad_u64_u32 v[54:55], s[6:7], s3, v58, v[47:48]
	ds_read2_b64 v[28:31], v28 offset0:16 offset1:192
	v_mov_b32_e32 v47, v49
	s_waitcnt lgkmcnt(2)
	v_mad_u64_u32 v[55:56], s[6:7], s3, v56, v[41:42]
	v_mad_u64_u32 v[56:57], s[6:7], s3, v57, v[47:48]
	v_mov_b32_e32 v49, v51
	v_add_u32_e32 v65, 0x370, v58
	v_mov_b32_e32 v51, v53
	v_mad_u64_u32 v[57:58], s[6:7], s3, v59, v[49:50]
	v_mad_u64_u32 v[58:59], s[6:7], s3, v60, v[51:52]
	v_mov_b32_e32 v47, v54
	v_mov_b32_e32 v41, v55
	v_mov_b32_e32 v49, v56
	s_mov_b32 s0, 0xe8584caa
	s_mov_b32 s1, 0xbfebb67a
	;; [unrolled: 1-line block ×4, first 2 shown]
	v_lshlrev_b64 v[46:47], 4, v[46:47]
	v_lshlrev_b64 v[40:41], 4, v[40:41]
	v_add_co_u32_e32 v46, vcc, v66, v46
	v_addc_co_u32_e32 v47, vcc, v67, v47, vcc
	v_lshlrev_b64 v[48:49], 4, v[48:49]
	v_add_co_u32_e32 v40, vcc, v66, v40
	v_addc_co_u32_e32 v41, vcc, v67, v41, vcc
	v_mov_b32_e32 v51, v57
	v_lshlrev_b64 v[50:51], 4, v[50:51]
	s_waitcnt vmcnt(4)
	v_mul_f64 v[53:54], v[36:37], v[10:11]
	s_waitcnt vmcnt(3)
	v_mul_f64 v[55:56], v[4:5], v[14:15]
	v_mul_f64 v[10:11], v[42:43], v[10:11]
	s_waitcnt lgkmcnt(0)
	v_mul_f64 v[14:15], v[30:31], v[14:15]
	s_waitcnt vmcnt(2)
	v_mul_f64 v[59:60], v[2:3], v[18:19]
	s_waitcnt vmcnt(1)
	;; [unrolled: 2-line block ×3, first 2 shown]
	v_mul_f64 v[63:64], v[34:35], v[24:25]
	v_mul_f64 v[18:19], v[28:29], v[18:19]
	;; [unrolled: 1-line block ×4, first 2 shown]
	v_fma_f64 v[42:43], v[42:43], v[8:9], -v[53:54]
	v_fma_f64 v[30:31], v[30:31], v[12:13], -v[55:56]
	v_fma_f64 v[8:9], v[36:37], v[8:9], v[10:11]
	v_fma_f64 v[4:5], v[4:5], v[12:13], v[14:15]
	v_fma_f64 v[10:11], v[28:29], v[16:17], -v[59:60]
	v_fma_f64 v[12:13], v[38:39], v[20:21], -v[61:62]
	v_fma_f64 v[2:3], v[2:3], v[16:17], v[18:19]
	v_fma_f64 v[14:15], v[32:33], v[20:21], v[22:23]
	;; [unrolled: 1-line block ×3, first 2 shown]
	v_fma_f64 v[18:19], v[44:45], v[24:25], -v[34:35]
	v_add_f64 v[22:23], v[42:43], v[30:31]
	v_add_f64 v[24:25], v[8:9], -v[4:5]
	v_add_f64 v[36:37], v[0:1], v[42:43]
	v_add_f64 v[26:27], v[10:11], v[12:13]
	v_add_f64 v[28:29], v[10:11], -v[12:13]
	v_add_f64 v[32:33], v[2:3], v[14:15]
	v_add_f64 v[34:35], v[2:3], -v[14:15]
	;; [unrolled: 2-line block ×3, first 2 shown]
	v_add_f64 v[42:43], v[8:9], v[4:5]
	v_add_f64 v[8:9], v[6:7], v[8:9]
	v_fma_f64 v[18:19], v[26:27], -0.5, v[18:19]
	v_add_f64 v[2:3], v[2:3], v[16:17]
	v_fma_f64 v[16:17], v[32:33], -0.5, v[16:17]
	v_fma_f64 v[0:1], v[22:23], -0.5, v[0:1]
	v_add_f64 v[10:11], v[12:13], v[10:11]
	v_add_f64 v[22:23], v[36:37], v[30:31]
	v_fma_f64 v[6:7], v[42:43], -0.5, v[6:7]
	v_add_f64 v[4:5], v[8:9], v[4:5]
	v_fma_f64 v[12:13], v[34:35], s[0:1], v[18:19]
	v_fma_f64 v[18:19], v[34:35], s[4:5], v[18:19]
	v_add_f64 v[26:27], v[14:15], v[2:3]
	v_fma_f64 v[8:9], v[28:29], s[4:5], v[16:17]
	v_fma_f64 v[14:15], v[28:29], s[0:1], v[16:17]
	;; [unrolled: 1-line block ×5, first 2 shown]
	v_mul_f64 v[16:17], v[12:13], -0.5
	v_mul_f64 v[28:29], v[18:19], 0.5
	v_mul_f64 v[18:19], v[18:19], s[0:1]
	v_mul_f64 v[12:13], v[12:13], s[0:1]
	v_fma_f64 v[34:35], v[38:39], s[0:1], v[6:7]
	v_add_f64 v[2:3], v[22:23], v[10:11]
	v_add_f64 v[0:1], v[4:5], v[26:27]
	v_add_f64 v[6:7], v[22:23], -v[10:11]
	v_fma_f64 v[16:17], v[8:9], s[4:5], v[16:17]
	v_fma_f64 v[28:29], v[14:15], s[4:5], v[28:29]
	v_fma_f64 v[38:39], v[14:15], 0.5, v[18:19]
	v_fma_f64 v[36:37], v[8:9], -0.5, v[12:13]
	v_add_f64 v[4:5], v[4:5], -v[26:27]
	v_add_co_u32_e32 v20, vcc, v66, v48
	v_addc_co_u32_e32 v21, vcc, v67, v49, vcc
	v_add_f64 v[14:15], v[24:25], v[28:29]
	v_add_f64 v[12:13], v[34:35], v[38:39]
	;; [unrolled: 1-line block ×4, first 2 shown]
	global_store_dwordx4 v[46:47], v[0:3], off
	global_store_dwordx4 v[40:41], v[12:15], off
	;; [unrolled: 1-line block ×3, first 2 shown]
	s_nop 0
	v_mad_u64_u32 v[8:9], s[0:1], s2, v65, 0
	v_add_co_u32_e32 v42, vcc, v66, v50
	v_add_f64 v[2:3], v[30:31], -v[16:17]
	v_add_f64 v[18:19], v[24:25], -v[28:29]
	;; [unrolled: 1-line block ×3, first 2 shown]
	v_addc_co_u32_e32 v43, vcc, v67, v51, vcc
	global_store_dwordx4 v[42:43], v[4:7], off
	v_mov_b32_e32 v53, v58
	v_mov_b32_e32 v6, v9
	v_mad_u64_u32 v[6:7], s[0:1], s3, v65, v[6:7]
	v_add_f64 v[0:1], v[32:33], -v[36:37]
	v_lshlrev_b64 v[4:5], 4, v[52:53]
	v_mov_b32_e32 v9, v6
	v_add_co_u32_e32 v4, vcc, v66, v4
	v_addc_co_u32_e32 v5, vcc, v67, v5, vcc
	global_store_dwordx4 v[4:5], v[16:19], off
	v_lshlrev_b64 v[4:5], 4, v[8:9]
	v_add_co_u32_e32 v4, vcc, v66, v4
	v_addc_co_u32_e32 v5, vcc, v67, v5, vcc
	global_store_dwordx4 v[4:5], v[0:3], off
.LBB0_23:
	s_endpgm
	.section	.rodata,"a",@progbits
	.p2align	6, 0x0
	.amdhsa_kernel fft_rtc_back_len1056_factors_2_2_2_2_11_6_wgs_176_tpt_176_halfLds_dp_ip_CI_sbrr_dirReg
		.amdhsa_group_segment_fixed_size 0
		.amdhsa_private_segment_fixed_size 0
		.amdhsa_kernarg_size 88
		.amdhsa_user_sgpr_count 6
		.amdhsa_user_sgpr_private_segment_buffer 1
		.amdhsa_user_sgpr_dispatch_ptr 0
		.amdhsa_user_sgpr_queue_ptr 0
		.amdhsa_user_sgpr_kernarg_segment_ptr 1
		.amdhsa_user_sgpr_dispatch_id 0
		.amdhsa_user_sgpr_flat_scratch_init 0
		.amdhsa_user_sgpr_private_segment_size 0
		.amdhsa_uses_dynamic_stack 0
		.amdhsa_system_sgpr_private_segment_wavefront_offset 0
		.amdhsa_system_sgpr_workgroup_id_x 1
		.amdhsa_system_sgpr_workgroup_id_y 0
		.amdhsa_system_sgpr_workgroup_id_z 0
		.amdhsa_system_sgpr_workgroup_info 0
		.amdhsa_system_vgpr_workitem_id 0
		.amdhsa_next_free_vgpr 116
		.amdhsa_next_free_sgpr 40
		.amdhsa_reserve_vcc 1
		.amdhsa_reserve_flat_scratch 0
		.amdhsa_float_round_mode_32 0
		.amdhsa_float_round_mode_16_64 0
		.amdhsa_float_denorm_mode_32 3
		.amdhsa_float_denorm_mode_16_64 3
		.amdhsa_dx10_clamp 1
		.amdhsa_ieee_mode 1
		.amdhsa_fp16_overflow 0
		.amdhsa_exception_fp_ieee_invalid_op 0
		.amdhsa_exception_fp_denorm_src 0
		.amdhsa_exception_fp_ieee_div_zero 0
		.amdhsa_exception_fp_ieee_overflow 0
		.amdhsa_exception_fp_ieee_underflow 0
		.amdhsa_exception_fp_ieee_inexact 0
		.amdhsa_exception_int_div_zero 0
	.end_amdhsa_kernel
	.text
.Lfunc_end0:
	.size	fft_rtc_back_len1056_factors_2_2_2_2_11_6_wgs_176_tpt_176_halfLds_dp_ip_CI_sbrr_dirReg, .Lfunc_end0-fft_rtc_back_len1056_factors_2_2_2_2_11_6_wgs_176_tpt_176_halfLds_dp_ip_CI_sbrr_dirReg
                                        ; -- End function
	.section	.AMDGPU.csdata,"",@progbits
; Kernel info:
; codeLenInByte = 7764
; NumSgprs: 44
; NumVgprs: 116
; ScratchSize: 0
; MemoryBound: 1
; FloatMode: 240
; IeeeMode: 1
; LDSByteSize: 0 bytes/workgroup (compile time only)
; SGPRBlocks: 5
; VGPRBlocks: 28
; NumSGPRsForWavesPerEU: 44
; NumVGPRsForWavesPerEU: 116
; Occupancy: 2
; WaveLimiterHint : 1
; COMPUTE_PGM_RSRC2:SCRATCH_EN: 0
; COMPUTE_PGM_RSRC2:USER_SGPR: 6
; COMPUTE_PGM_RSRC2:TRAP_HANDLER: 0
; COMPUTE_PGM_RSRC2:TGID_X_EN: 1
; COMPUTE_PGM_RSRC2:TGID_Y_EN: 0
; COMPUTE_PGM_RSRC2:TGID_Z_EN: 0
; COMPUTE_PGM_RSRC2:TIDIG_COMP_CNT: 0
	.type	__hip_cuid_d8fa98ad292bd4a1,@object ; @__hip_cuid_d8fa98ad292bd4a1
	.section	.bss,"aw",@nobits
	.globl	__hip_cuid_d8fa98ad292bd4a1
__hip_cuid_d8fa98ad292bd4a1:
	.byte	0                               ; 0x0
	.size	__hip_cuid_d8fa98ad292bd4a1, 1

	.ident	"AMD clang version 19.0.0git (https://github.com/RadeonOpenCompute/llvm-project roc-6.4.0 25133 c7fe45cf4b819c5991fe208aaa96edf142730f1d)"
	.section	".note.GNU-stack","",@progbits
	.addrsig
	.addrsig_sym __hip_cuid_d8fa98ad292bd4a1
	.amdgpu_metadata
---
amdhsa.kernels:
  - .args:
      - .actual_access:  read_only
        .address_space:  global
        .offset:         0
        .size:           8
        .value_kind:     global_buffer
      - .offset:         8
        .size:           8
        .value_kind:     by_value
      - .actual_access:  read_only
        .address_space:  global
        .offset:         16
        .size:           8
        .value_kind:     global_buffer
      - .actual_access:  read_only
        .address_space:  global
        .offset:         24
        .size:           8
        .value_kind:     global_buffer
      - .offset:         32
        .size:           8
        .value_kind:     by_value
      - .actual_access:  read_only
        .address_space:  global
        .offset:         40
        .size:           8
        .value_kind:     global_buffer
      - .actual_access:  read_only
        .address_space:  global
        .offset:         48
        .size:           8
        .value_kind:     global_buffer
      - .offset:         56
        .size:           4
        .value_kind:     by_value
      - .actual_access:  read_only
        .address_space:  global
        .offset:         64
        .size:           8
        .value_kind:     global_buffer
      - .actual_access:  read_only
        .address_space:  global
        .offset:         72
        .size:           8
        .value_kind:     global_buffer
      - .address_space:  global
        .offset:         80
        .size:           8
        .value_kind:     global_buffer
    .group_segment_fixed_size: 0
    .kernarg_segment_align: 8
    .kernarg_segment_size: 88
    .language:       OpenCL C
    .language_version:
      - 2
      - 0
    .max_flat_workgroup_size: 176
    .name:           fft_rtc_back_len1056_factors_2_2_2_2_11_6_wgs_176_tpt_176_halfLds_dp_ip_CI_sbrr_dirReg
    .private_segment_fixed_size: 0
    .sgpr_count:     44
    .sgpr_spill_count: 0
    .symbol:         fft_rtc_back_len1056_factors_2_2_2_2_11_6_wgs_176_tpt_176_halfLds_dp_ip_CI_sbrr_dirReg.kd
    .uniform_work_group_size: 1
    .uses_dynamic_stack: false
    .vgpr_count:     116
    .vgpr_spill_count: 0
    .wavefront_size: 64
amdhsa.target:   amdgcn-amd-amdhsa--gfx906
amdhsa.version:
  - 1
  - 2
...

	.end_amdgpu_metadata
